;; amdgpu-corpus repo=ROCm/rocFFT kind=compiled arch=gfx906 opt=O3
	.text
	.amdgcn_target "amdgcn-amd-amdhsa--gfx906"
	.amdhsa_code_object_version 6
	.protected	fft_rtc_fwd_len208_factors_13_16_wgs_64_tpt_16_halfLds_dp_op_CI_CI_sbrr_dirReg ; -- Begin function fft_rtc_fwd_len208_factors_13_16_wgs_64_tpt_16_halfLds_dp_op_CI_CI_sbrr_dirReg
	.globl	fft_rtc_fwd_len208_factors_13_16_wgs_64_tpt_16_halfLds_dp_op_CI_CI_sbrr_dirReg
	.p2align	8
	.type	fft_rtc_fwd_len208_factors_13_16_wgs_64_tpt_16_halfLds_dp_op_CI_CI_sbrr_dirReg,@function
fft_rtc_fwd_len208_factors_13_16_wgs_64_tpt_16_halfLds_dp_op_CI_CI_sbrr_dirReg: ; @fft_rtc_fwd_len208_factors_13_16_wgs_64_tpt_16_halfLds_dp_op_CI_CI_sbrr_dirReg
; %bb.0:
	s_load_dwordx4 s[16:19], s[4:5], 0x18
	s_load_dwordx4 s[12:15], s[4:5], 0x0
	;; [unrolled: 1-line block ×3, first 2 shown]
	v_lshrrev_b32_e32 v18, 4, v0
	v_mov_b32_e32 v1, 0
	s_waitcnt lgkmcnt(0)
	s_load_dwordx2 s[2:3], s[16:17], 0x0
	s_load_dwordx2 s[20:21], s[18:19], 0x0
	v_cmp_lt_u64_e64 s[0:1], s[14:15], 2
	v_mov_b32_e32 v4, 0
	v_lshl_or_b32 v6, s6, 2, v18
	v_mov_b32_e32 v7, v1
	s_and_b64 vcc, exec, s[0:1]
	v_mov_b32_e32 v5, 0
	s_cbranch_vccnz .LBB0_8
; %bb.1:
	s_load_dwordx2 s[0:1], s[4:5], 0x10
	s_add_u32 s6, s18, 8
	s_addc_u32 s7, s19, 0
	s_add_u32 s22, s16, 8
	v_mov_b32_e32 v4, 0
	s_addc_u32 s23, s17, 0
	v_mov_b32_e32 v5, 0
	s_waitcnt lgkmcnt(0)
	s_add_u32 s24, s0, 8
	v_mov_b32_e32 v61, v5
	s_addc_u32 s25, s1, 0
	s_mov_b64 s[26:27], 1
	v_mov_b32_e32 v60, v4
.LBB0_2:                                ; =>This Inner Loop Header: Depth=1
	s_load_dwordx2 s[28:29], s[24:25], 0x0
                                        ; implicit-def: $vgpr62_vgpr63
	s_waitcnt lgkmcnt(0)
	v_or_b32_e32 v2, s29, v7
	v_cmp_ne_u64_e32 vcc, 0, v[1:2]
	s_and_saveexec_b64 s[0:1], vcc
	s_xor_b64 s[30:31], exec, s[0:1]
	s_cbranch_execz .LBB0_4
; %bb.3:                                ;   in Loop: Header=BB0_2 Depth=1
	v_cvt_f32_u32_e32 v2, s28
	v_cvt_f32_u32_e32 v3, s29
	s_sub_u32 s0, 0, s28
	s_subb_u32 s1, 0, s29
	v_mac_f32_e32 v2, 0x4f800000, v3
	v_rcp_f32_e32 v2, v2
	v_mul_f32_e32 v2, 0x5f7ffffc, v2
	v_mul_f32_e32 v3, 0x2f800000, v2
	v_trunc_f32_e32 v3, v3
	v_mac_f32_e32 v2, 0xcf800000, v3
	v_cvt_u32_f32_e32 v3, v3
	v_cvt_u32_f32_e32 v2, v2
	v_mul_lo_u32 v8, s0, v3
	v_mul_hi_u32 v9, s0, v2
	v_mul_lo_u32 v11, s1, v2
	v_mul_lo_u32 v10, s0, v2
	v_add_u32_e32 v8, v9, v8
	v_add_u32_e32 v8, v8, v11
	v_mul_hi_u32 v9, v2, v10
	v_mul_lo_u32 v11, v2, v8
	v_mul_hi_u32 v13, v2, v8
	v_mul_hi_u32 v12, v3, v10
	v_mul_lo_u32 v10, v3, v10
	v_mul_hi_u32 v14, v3, v8
	v_add_co_u32_e32 v9, vcc, v9, v11
	v_addc_co_u32_e32 v11, vcc, 0, v13, vcc
	v_mul_lo_u32 v8, v3, v8
	v_add_co_u32_e32 v9, vcc, v9, v10
	v_addc_co_u32_e32 v9, vcc, v11, v12, vcc
	v_addc_co_u32_e32 v10, vcc, 0, v14, vcc
	v_add_co_u32_e32 v8, vcc, v9, v8
	v_addc_co_u32_e32 v9, vcc, 0, v10, vcc
	v_add_co_u32_e32 v2, vcc, v2, v8
	v_addc_co_u32_e32 v3, vcc, v3, v9, vcc
	v_mul_lo_u32 v8, s0, v3
	v_mul_hi_u32 v9, s0, v2
	v_mul_lo_u32 v10, s1, v2
	v_mul_lo_u32 v11, s0, v2
	v_add_u32_e32 v8, v9, v8
	v_add_u32_e32 v8, v8, v10
	v_mul_lo_u32 v12, v2, v8
	v_mul_hi_u32 v13, v2, v11
	v_mul_hi_u32 v14, v2, v8
	;; [unrolled: 1-line block ×3, first 2 shown]
	v_mul_lo_u32 v11, v3, v11
	v_mul_hi_u32 v9, v3, v8
	v_add_co_u32_e32 v12, vcc, v13, v12
	v_addc_co_u32_e32 v13, vcc, 0, v14, vcc
	v_mul_lo_u32 v8, v3, v8
	v_add_co_u32_e32 v11, vcc, v12, v11
	v_addc_co_u32_e32 v10, vcc, v13, v10, vcc
	v_addc_co_u32_e32 v9, vcc, 0, v9, vcc
	v_add_co_u32_e32 v8, vcc, v10, v8
	v_addc_co_u32_e32 v9, vcc, 0, v9, vcc
	v_add_co_u32_e32 v8, vcc, v2, v8
	v_addc_co_u32_e32 v9, vcc, v3, v9, vcc
	v_mad_u64_u32 v[2:3], s[0:1], v6, v9, 0
	v_mul_hi_u32 v10, v6, v8
	v_add_co_u32_e32 v10, vcc, v10, v2
	v_addc_co_u32_e32 v11, vcc, 0, v3, vcc
	v_mad_u64_u32 v[2:3], s[0:1], v7, v8, 0
	v_mad_u64_u32 v[8:9], s[0:1], v7, v9, 0
	v_add_co_u32_e32 v2, vcc, v10, v2
	v_addc_co_u32_e32 v2, vcc, v11, v3, vcc
	v_addc_co_u32_e32 v3, vcc, 0, v9, vcc
	v_add_co_u32_e32 v8, vcc, v2, v8
	v_addc_co_u32_e32 v9, vcc, 0, v3, vcc
	v_mul_lo_u32 v10, s29, v8
	v_mul_lo_u32 v11, s28, v9
	v_mad_u64_u32 v[2:3], s[0:1], s28, v8, 0
	v_add3_u32 v3, v3, v11, v10
	v_sub_u32_e32 v10, v7, v3
	v_mov_b32_e32 v11, s29
	v_sub_co_u32_e32 v2, vcc, v6, v2
	v_subb_co_u32_e64 v10, s[0:1], v10, v11, vcc
	v_subrev_co_u32_e64 v11, s[0:1], s28, v2
	v_subbrev_co_u32_e64 v10, s[0:1], 0, v10, s[0:1]
	v_cmp_le_u32_e64 s[0:1], s29, v10
	v_cndmask_b32_e64 v12, 0, -1, s[0:1]
	v_cmp_le_u32_e64 s[0:1], s28, v11
	v_cndmask_b32_e64 v11, 0, -1, s[0:1]
	v_cmp_eq_u32_e64 s[0:1], s29, v10
	v_cndmask_b32_e64 v10, v12, v11, s[0:1]
	v_add_co_u32_e64 v11, s[0:1], 2, v8
	v_addc_co_u32_e64 v12, s[0:1], 0, v9, s[0:1]
	v_add_co_u32_e64 v13, s[0:1], 1, v8
	v_addc_co_u32_e64 v14, s[0:1], 0, v9, s[0:1]
	v_subb_co_u32_e32 v3, vcc, v7, v3, vcc
	v_cmp_ne_u32_e64 s[0:1], 0, v10
	v_cmp_le_u32_e32 vcc, s29, v3
	v_cndmask_b32_e64 v10, v14, v12, s[0:1]
	v_cndmask_b32_e64 v12, 0, -1, vcc
	v_cmp_le_u32_e32 vcc, s28, v2
	v_cndmask_b32_e64 v2, 0, -1, vcc
	v_cmp_eq_u32_e32 vcc, s29, v3
	v_cndmask_b32_e32 v2, v12, v2, vcc
	v_cmp_ne_u32_e32 vcc, 0, v2
	v_cndmask_b32_e64 v2, v13, v11, s[0:1]
	v_cndmask_b32_e32 v63, v9, v10, vcc
	v_cndmask_b32_e32 v62, v8, v2, vcc
.LBB0_4:                                ;   in Loop: Header=BB0_2 Depth=1
	s_andn2_saveexec_b64 s[0:1], s[30:31]
	s_cbranch_execz .LBB0_6
; %bb.5:                                ;   in Loop: Header=BB0_2 Depth=1
	v_cvt_f32_u32_e32 v2, s28
	s_sub_i32 s30, 0, s28
	v_mov_b32_e32 v63, v1
	v_rcp_iflag_f32_e32 v2, v2
	v_mul_f32_e32 v2, 0x4f7ffffe, v2
	v_cvt_u32_f32_e32 v2, v2
	v_mul_lo_u32 v3, s30, v2
	v_mul_hi_u32 v3, v2, v3
	v_add_u32_e32 v2, v2, v3
	v_mul_hi_u32 v2, v6, v2
	v_mul_lo_u32 v3, v2, s28
	v_add_u32_e32 v8, 1, v2
	v_sub_u32_e32 v3, v6, v3
	v_subrev_u32_e32 v9, s28, v3
	v_cmp_le_u32_e32 vcc, s28, v3
	v_cndmask_b32_e32 v3, v3, v9, vcc
	v_cndmask_b32_e32 v2, v2, v8, vcc
	v_add_u32_e32 v8, 1, v2
	v_cmp_le_u32_e32 vcc, s28, v3
	v_cndmask_b32_e32 v62, v2, v8, vcc
.LBB0_6:                                ;   in Loop: Header=BB0_2 Depth=1
	s_or_b64 exec, exec, s[0:1]
	v_mul_lo_u32 v8, v63, s28
	v_mul_lo_u32 v9, v62, s29
	v_mad_u64_u32 v[2:3], s[0:1], v62, s28, 0
	s_load_dwordx2 s[0:1], s[22:23], 0x0
	s_load_dwordx2 s[28:29], s[6:7], 0x0
	v_add3_u32 v3, v3, v9, v8
	v_sub_co_u32_e32 v2, vcc, v6, v2
	v_subb_co_u32_e32 v3, vcc, v7, v3, vcc
	s_waitcnt lgkmcnt(0)
	v_mul_lo_u32 v6, s0, v3
	v_mul_lo_u32 v7, s1, v2
	v_mad_u64_u32 v[4:5], s[0:1], s0, v2, v[4:5]
	v_mul_lo_u32 v3, s28, v3
	v_mul_lo_u32 v8, s29, v2
	v_mad_u64_u32 v[60:61], s[0:1], s28, v2, v[60:61]
	s_add_u32 s26, s26, 1
	s_addc_u32 s27, s27, 0
	s_add_u32 s6, s6, 8
	v_add3_u32 v61, v8, v61, v3
	s_addc_u32 s7, s7, 0
	v_mov_b32_e32 v2, s14
	s_add_u32 s22, s22, 8
	v_mov_b32_e32 v3, s15
	s_addc_u32 s23, s23, 0
	v_cmp_ge_u64_e32 vcc, s[26:27], v[2:3]
	s_add_u32 s24, s24, 8
	v_add3_u32 v5, v7, v5, v6
	s_addc_u32 s25, s25, 0
	s_cbranch_vccnz .LBB0_9
; %bb.7:                                ;   in Loop: Header=BB0_2 Depth=1
	v_mov_b32_e32 v6, v62
	v_mov_b32_e32 v7, v63
	s_branch .LBB0_2
.LBB0_8:
	v_mov_b32_e32 v61, v5
	v_mov_b32_e32 v63, v7
	;; [unrolled: 1-line block ×4, first 2 shown]
.LBB0_9:
	s_load_dwordx2 s[0:1], s[4:5], 0x28
	s_lshl_b64 s[6:7], s[14:15], 3
	s_add_u32 s24, s18, s6
	s_addc_u32 s25, s19, s7
	v_and_b32_e32 v88, 15, v0
	s_waitcnt lgkmcnt(0)
	v_cmp_gt_u64_e32 vcc, s[0:1], v[62:63]
	v_cmp_le_u64_e64 s[0:1], s[0:1], v[62:63]
	s_and_saveexec_b64 s[4:5], s[0:1]
	s_xor_b64 s[0:1], exec, s[4:5]
; %bb.10:
	v_and_b32_e32 v88, 15, v0
                                        ; implicit-def: $vgpr4_vgpr5
; %bb.11:
	s_or_saveexec_b64 s[4:5], s[0:1]
                                        ; implicit-def: $vgpr54_vgpr55
                                        ; implicit-def: $vgpr42_vgpr43
                                        ; implicit-def: $vgpr34_vgpr35
                                        ; implicit-def: $vgpr22_vgpr23
                                        ; implicit-def: $vgpr10_vgpr11
                                        ; implicit-def: $vgpr2_vgpr3
                                        ; implicit-def: $vgpr14_vgpr15
                                        ; implicit-def: $vgpr38_vgpr39
                                        ; implicit-def: $vgpr46_vgpr47
                                        ; implicit-def: $vgpr58_vgpr59
                                        ; implicit-def: $vgpr26_vgpr27
                                        ; implicit-def: $vgpr6_vgpr7
                                        ; implicit-def: $vgpr50_vgpr51
	s_xor_b64 exec, exec, s[4:5]
	s_cbranch_execz .LBB0_13
; %bb.12:
	s_add_u32 s0, s16, s6
	s_addc_u32 s1, s17, s7
	s_load_dwordx2 s[0:1], s[0:1], 0x0
	v_mad_u64_u32 v[0:1], s[6:7], s2, v88, 0
	s_waitcnt lgkmcnt(0)
	v_mul_lo_u32 v8, s1, v62
	v_mul_lo_u32 v9, s0, v63
	v_mad_u64_u32 v[2:3], s[0:1], s0, v62, 0
	v_mad_u64_u32 v[6:7], s[0:1], s3, v88, v[1:2]
	v_add3_u32 v3, v3, v9, v8
	v_lshlrev_b64 v[2:3], 4, v[2:3]
	v_mov_b32_e32 v1, v6
	v_mov_b32_e32 v6, s9
	v_add_co_u32_e64 v7, s[0:1], s8, v2
	v_or_b32_e32 v8, 16, v88
	v_addc_co_u32_e64 v6, s[0:1], v6, v3, s[0:1]
	v_lshlrev_b64 v[2:3], 4, v[4:5]
	v_mad_u64_u32 v[4:5], s[0:1], s2, v8, 0
	v_add_co_u32_e64 v9, s[0:1], v7, v2
	v_mov_b32_e32 v2, v5
	v_addc_co_u32_e64 v10, s[0:1], v6, v3, s[0:1]
	v_mad_u64_u32 v[2:3], s[0:1], s3, v8, v[2:3]
	v_or_b32_e32 v3, 32, v88
	v_mad_u64_u32 v[6:7], s[0:1], s2, v3, 0
	v_lshlrev_b64 v[0:1], 4, v[0:1]
	v_mov_b32_e32 v5, v2
	v_add_co_u32_e64 v16, s[0:1], v9, v0
	v_mov_b32_e32 v2, v7
	v_addc_co_u32_e64 v17, s[0:1], v10, v1, s[0:1]
	v_lshlrev_b64 v[0:1], 4, v[4:5]
	v_mad_u64_u32 v[2:3], s[0:1], s3, v3, v[2:3]
	v_or_b32_e32 v5, 48, v88
	v_mad_u64_u32 v[3:4], s[0:1], s2, v5, 0
	v_add_co_u32_e64 v28, s[0:1], v9, v0
	v_mov_b32_e32 v7, v2
	v_mov_b32_e32 v2, v4
	v_addc_co_u32_e64 v29, s[0:1], v10, v1, s[0:1]
	v_lshlrev_b64 v[0:1], 4, v[6:7]
	v_mad_u64_u32 v[4:5], s[0:1], s3, v5, v[2:3]
	v_or_b32_e32 v7, 64, v88
	v_mad_u64_u32 v[5:6], s[0:1], s2, v7, 0
	v_add_co_u32_e64 v30, s[0:1], v9, v0
	v_mov_b32_e32 v2, v6
	v_addc_co_u32_e64 v31, s[0:1], v10, v1, s[0:1]
	v_lshlrev_b64 v[0:1], 4, v[3:4]
	v_mad_u64_u32 v[2:3], s[0:1], s3, v7, v[2:3]
	v_or_b32_e32 v7, 0x50, v88
	v_mad_u64_u32 v[3:4], s[0:1], s2, v7, 0
	v_add_co_u32_e64 v64, s[0:1], v9, v0
	v_mov_b32_e32 v6, v2
	v_mov_b32_e32 v2, v4
	v_addc_co_u32_e64 v65, s[0:1], v10, v1, s[0:1]
	v_lshlrev_b64 v[0:1], 4, v[5:6]
	v_mad_u64_u32 v[4:5], s[0:1], s3, v7, v[2:3]
	v_or_b32_e32 v7, 0x60, v88
	v_mad_u64_u32 v[5:6], s[0:1], s2, v7, 0
	;; [unrolled: 15-line block ×5, first 2 shown]
	v_add_co_u32_e64 v78, s[0:1], v9, v0
	v_mov_b32_e32 v2, v6
	v_addc_co_u32_e64 v79, s[0:1], v10, v1, s[0:1]
	v_lshlrev_b64 v[0:1], 4, v[3:4]
	v_mad_u64_u32 v[2:3], s[0:1], s3, v7, v[2:3]
	v_add_co_u32_e64 v80, s[0:1], v9, v0
	v_mov_b32_e32 v6, v2
	v_addc_co_u32_e64 v81, s[0:1], v10, v1, s[0:1]
	v_lshlrev_b64 v[0:1], 4, v[5:6]
	v_add_co_u32_e64 v82, s[0:1], v9, v0
	v_addc_co_u32_e64 v83, s[0:1], v10, v1, s[0:1]
	global_load_dwordx4 v[48:51], v[16:17], off
	global_load_dwordx4 v[52:55], v[28:29], off
	;; [unrolled: 1-line block ×13, first 2 shown]
.LBB0_13:
	s_or_b64 exec, exec, s[4:5]
	s_waitcnt vmcnt(0)
	v_add_f64 v[16:17], v[52:53], v[56:57]
	s_mov_b32 s6, 0xe00740e9
	s_mov_b32 s7, 0x3fec55a7
	v_add_f64 v[28:29], v[54:55], -v[58:59]
	v_add_f64 v[78:79], v[40:41], v[44:45]
	s_mov_b32 s8, 0x4267c47c
	s_mov_b32 s4, 0x1ea71119
	;; [unrolled: 1-line block ×3, first 2 shown]
	v_mul_f64 v[30:31], v[16:17], s[6:7]
	s_mov_b32 s5, 0x3fe22d96
	v_add_f64 v[82:83], v[42:43], -v[46:47]
	s_mov_b32 s16, 0x42a4c3d2
	v_mul_f64 v[84:85], v[78:79], s[4:5]
	s_mov_b32 s2, 0xebaa3ed8
	s_mov_b32 s18, 0xb2365da1
	;; [unrolled: 1-line block ×3, first 2 shown]
	v_fma_f64 v[66:67], v[28:29], s[8:9], v[30:31]
	s_mov_b32 s34, 0x93053d00
	s_mov_b32 s47, 0xbfddbe06
	;; [unrolled: 1-line block ×8, first 2 shown]
	v_mul_f64 v[64:65], v[16:17], s[4:5]
	v_fma_f64 v[30:31], v[28:29], s[46:47], v[30:31]
	v_mul_f64 v[70:71], v[16:17], s[2:3]
	v_mul_f64 v[72:73], v[16:17], s[18:19]
	;; [unrolled: 1-line block ×4, first 2 shown]
	v_add_f64 v[66:67], v[66:67], v[48:49]
	v_fma_f64 v[89:90], v[82:83], s[16:17], v[84:85]
	s_mov_b32 s14, 0x66966769
	s_mov_b32 s44, 0x2ef20147
	;; [unrolled: 1-line block ×18, first 2 shown]
	v_fma_f64 v[68:69], v[28:29], s[16:17], v[64:65]
	v_fma_f64 v[64:65], v[28:29], s[28:29], v[64:65]
	;; [unrolled: 1-line block ×8, first 2 shown]
	v_add_f64 v[30:31], v[30:31], v[48:49]
	v_fma_f64 v[84:85], v[82:83], s[28:29], v[84:85]
	v_mul_f64 v[91:92], v[78:79], s[18:19]
	v_fma_f64 v[93:94], v[28:29], s[40:41], v[16:17]
	v_fma_f64 v[16:17], v[28:29], s[36:37], v[16:17]
	v_add_f64 v[28:29], v[89:90], v[66:67]
	v_mul_f64 v[66:67], v[78:79], s[34:35]
	v_add_f64 v[68:69], v[68:69], v[48:49]
	v_mul_f64 v[89:90], v[78:79], s[26:27]
	v_add_f64 v[30:31], v[84:85], v[30:31]
	v_fma_f64 v[84:85], v[82:83], s[44:45], v[91:92]
	v_add_f64 v[70:71], v[70:71], v[48:49]
	v_add_f64 v[64:65], v[64:65], v[48:49]
	v_fma_f64 v[91:92], v[82:83], s[22:23], v[91:92]
	v_fma_f64 v[95:96], v[82:83], s[40:41], v[66:67]
	v_fma_f64 v[66:67], v[82:83], s[36:37], v[66:67]
	v_add_f64 v[74:75], v[74:75], v[48:49]
	v_add_f64 v[76:77], v[76:77], v[48:49]
	v_fma_f64 v[97:98], v[82:83], s[30:31], v[89:90]
	v_add_f64 v[72:73], v[72:73], v[48:49]
	v_fma_f64 v[89:90], v[82:83], s[42:43], v[89:90]
	v_add_f64 v[68:69], v[84:85], v[68:69]
	v_mul_f64 v[84:85], v[78:79], s[2:3]
	v_add_f64 v[66:67], v[66:67], v[70:71]
	v_add_f64 v[70:71], v[32:33], v[36:37]
	v_mul_f64 v[78:79], v[78:79], s[6:7]
	v_add_f64 v[64:65], v[91:92], v[64:65]
	v_add_f64 v[74:75], v[95:96], v[74:75]
	;; [unrolled: 1-line block ×5, first 2 shown]
	v_fma_f64 v[89:90], v[82:83], s[38:39], v[84:85]
	v_add_f64 v[80:81], v[80:81], v[48:49]
	v_add_f64 v[91:92], v[34:35], -v[38:39]
	v_mul_f64 v[95:96], v[70:71], s[2:3]
	v_fma_f64 v[84:85], v[82:83], s[14:15], v[84:85]
	v_mul_f64 v[97:98], v[70:71], s[34:35]
	v_fma_f64 v[99:100], v[82:83], s[46:47], v[78:79]
	v_fma_f64 v[78:79], v[82:83], s[8:9], v[78:79]
	v_add_f64 v[16:17], v[16:17], v[48:49]
	v_add_f64 v[82:83], v[89:90], v[86:87]
	;; [unrolled: 1-line block ×3, first 2 shown]
	v_fma_f64 v[86:87], v[91:92], s[14:15], v[95:96]
	v_fma_f64 v[89:90], v[91:92], s[38:39], v[95:96]
	v_add_f64 v[80:81], v[84:85], v[80:81]
	v_fma_f64 v[84:85], v[91:92], s[40:41], v[97:98]
	v_fma_f64 v[95:96], v[91:92], s[36:37], v[97:98]
	v_add_f64 v[16:17], v[78:79], v[16:17]
	v_mul_f64 v[78:79], v[70:71], s[18:19]
	v_add_f64 v[93:94], v[99:100], v[93:94]
	v_add_f64 v[28:29], v[86:87], v[28:29]
	;; [unrolled: 1-line block ×3, first 2 shown]
	v_mul_f64 v[86:87], v[70:71], s[6:7]
	v_add_f64 v[68:69], v[84:85], v[68:69]
	v_mul_f64 v[84:85], v[70:71], s[4:5]
	v_add_f64 v[64:65], v[95:96], v[64:65]
	v_fma_f64 v[89:90], v[91:92], s[22:23], v[78:79]
	v_add_f64 v[95:96], v[20:21], v[24:25]
	v_mul_f64 v[70:71], v[70:71], s[26:27]
	v_fma_f64 v[78:79], v[91:92], s[44:45], v[78:79]
	v_fma_f64 v[97:98], v[91:92], s[46:47], v[86:87]
	;; [unrolled: 1-line block ×5, first 2 shown]
	v_add_f64 v[103:104], v[22:23], -v[26:27]
	v_mul_f64 v[105:106], v[95:96], s[18:19]
	v_add_f64 v[74:75], v[89:90], v[74:75]
	v_mul_f64 v[89:90], v[95:96], s[26:27]
	v_add_f64 v[48:49], v[52:53], v[48:49]
	v_fma_f64 v[101:102], v[91:92], s[42:43], v[70:71]
	v_fma_f64 v[70:71], v[91:92], s[30:31], v[70:71]
	v_add_f64 v[66:67], v[78:79], v[66:67]
	v_add_f64 v[72:73], v[86:87], v[72:73]
	;; [unrolled: 1-line block ×3, first 2 shown]
	v_fma_f64 v[82:83], v[103:104], s[44:45], v[105:106]
	v_fma_f64 v[86:87], v[103:104], s[22:23], v[105:106]
	v_add_f64 v[80:81], v[84:85], v[80:81]
	v_fma_f64 v[84:85], v[103:104], s[30:31], v[89:90]
	v_add_f64 v[48:49], v[40:41], v[48:49]
	;; [unrolled: 2-line block ×3, first 2 shown]
	v_mul_f64 v[70:71], v[95:96], s[6:7]
	v_add_f64 v[28:29], v[82:83], v[28:29]
	v_add_f64 v[30:31], v[86:87], v[30:31]
	v_mul_f64 v[82:83], v[95:96], s[2:3]
	v_add_f64 v[68:69], v[84:85], v[68:69]
	v_mul_f64 v[84:85], v[95:96], s[34:35]
	v_mul_f64 v[86:87], v[95:96], s[4:5]
	v_add_f64 v[95:96], v[8:9], v[12:13]
	v_add_f64 v[48:49], v[32:33], v[48:49]
	;; [unrolled: 1-line block ×5, first 2 shown]
	v_fma_f64 v[89:90], v[103:104], s[46:47], v[70:71]
	v_fma_f64 v[70:71], v[103:104], s[8:9], v[70:71]
	;; [unrolled: 1-line block ×8, first 2 shown]
	v_add_f64 v[101:102], v[10:11], -v[14:15]
	v_mul_f64 v[103:104], v[95:96], s[26:27]
	v_add_f64 v[48:49], v[20:21], v[48:49]
	v_add_f64 v[66:67], v[70:71], v[66:67]
	v_mul_f64 v[70:71], v[95:96], s[2:3]
	v_add_f64 v[72:73], v[82:83], v[72:73]
	v_add_f64 v[74:75], v[89:90], v[74:75]
	;; [unrolled: 1-line block ×4, first 2 shown]
	v_fma_f64 v[82:83], v[101:102], s[42:43], v[103:104]
	v_add_f64 v[48:49], v[8:9], v[48:49]
	v_fma_f64 v[84:85], v[101:102], s[30:31], v[103:104]
	v_fma_f64 v[89:90], v[101:102], s[38:39], v[70:71]
	;; [unrolled: 1-line block ×3, first 2 shown]
	v_add_f64 v[93:94], v[0:1], v[4:5]
	v_add_f64 v[16:17], v[86:87], v[16:17]
	v_mul_f64 v[86:87], v[95:96], s[18:19]
	v_add_f64 v[28:29], v[82:83], v[28:29]
	v_mul_f64 v[82:83], v[95:96], s[4:5]
	v_add_f64 v[48:49], v[4:5], v[48:49]
	v_add_f64 v[30:31], v[84:85], v[30:31]
	;; [unrolled: 1-line block ×3, first 2 shown]
	v_mul_f64 v[84:85], v[95:96], s[34:35]
	v_add_f64 v[70:71], v[70:71], v[64:65]
	v_mul_f64 v[64:65], v[95:96], s[6:7]
	v_add_f64 v[103:104], v[6:7], -v[2:3]
	v_fma_f64 v[89:90], v[101:102], s[16:17], v[82:83]
	v_mul_f64 v[105:106], v[93:94], s[34:35]
	v_add_f64 v[48:49], v[0:1], v[48:49]
	v_add_f64 v[78:79], v[97:98], v[78:79]
	;; [unrolled: 1-line block ×3, first 2 shown]
	v_fma_f64 v[82:83], v[101:102], s[28:29], v[82:83]
	v_fma_f64 v[95:96], v[101:102], s[36:37], v[84:85]
	;; [unrolled: 1-line block ×7, first 2 shown]
	v_mul_f64 v[101:102], v[93:94], s[6:7]
	v_add_f64 v[89:90], v[89:90], v[74:75]
	v_fma_f64 v[74:75], v[103:104], s[40:41], v[105:106]
	v_add_f64 v[48:49], v[12:13], v[48:49]
	v_add_f64 v[66:67], v[82:83], v[66:67]
	;; [unrolled: 1-line block ×5, first 2 shown]
	v_fma_f64 v[82:83], v[103:104], s[46:47], v[101:102]
	v_fma_f64 v[80:81], v[103:104], s[8:9], v[101:102]
	v_add_f64 v[64:65], v[74:75], v[28:29]
	v_add_f64 v[28:29], v[24:25], v[48:49]
	;; [unrolled: 1-line block ×3, first 2 shown]
	v_mul_f64 v[16:17], v[93:94], s[26:27]
	v_mul_f64 v[48:49], v[93:94], s[4:5]
	v_add_f64 v[72:73], v[84:85], v[72:73]
	v_add_f64 v[82:83], v[82:83], v[68:69]
	;; [unrolled: 1-line block ×3, first 2 shown]
	v_mul_f64 v[68:69], v[93:94], s[18:19]
	v_mul_f64 v[70:71], v[93:94], s[2:3]
	v_add_f64 v[28:29], v[36:37], v[28:29]
	v_add_f64 v[91:92], v[99:100], v[91:92]
	v_fma_f64 v[93:94], v[103:104], s[36:37], v[105:106]
	v_fma_f64 v[80:81], v[103:104], s[42:43], v[16:17]
	;; [unrolled: 1-line block ×9, first 2 shown]
	v_add_f64 v[28:29], v[44:45], v[28:29]
	v_add_f64 v[80:81], v[80:81], v[89:90]
	;; [unrolled: 1-line block ×10, first 2 shown]
	v_mul_u32_u24_e32 v28, 0xd0, v18
	v_add_f64 v[18:19], v[93:94], v[30:31]
	s_load_dwordx2 s[24:25], s[24:25], 0x0
	s_movk_i32 s0, 0x68
	v_mad_u32_u24 v30, v88, s0, 0
	v_lshl_add_u32 v89, v28, 3, v30
	v_cmp_gt_u32_e64 s[0:1], 13, v88
	v_lshlrev_b32_e32 v90, 3, v28
	v_lshlrev_b32_e32 v91, 3, v88
	ds_write2_b64 v89, v[48:49], v[64:65] offset1:1
	ds_write2_b64 v89, v[82:83], v[80:81] offset0:2 offset1:3
	ds_write2_b64 v89, v[70:71], v[66:67] offset0:4 offset1:5
	ds_write2_b64 v89, v[86:87], v[76:77] offset0:6 offset1:7
	ds_write2_b64 v89, v[68:69], v[16:17] offset0:8 offset1:9
	ds_write2_b64 v89, v[84:85], v[74:75] offset0:10 offset1:11
	ds_write_b64 v89, v[18:19] offset:96
	s_waitcnt lgkmcnt(0)
	; wave barrier
	s_waitcnt lgkmcnt(0)
                                        ; implicit-def: $vgpr72_vgpr73
                                        ; implicit-def: $vgpr28_vgpr29
	s_and_saveexec_b64 s[48:49], s[0:1]
	s_cbranch_execz .LBB0_15
; %bb.14:
	v_mul_i32_i24_e32 v16, 0xffffffa0, v88
	v_add3_u32 v48, 0, v90, v91
	v_add3_u32 v72, v30, v16, v90
	ds_read2_b64 v[64:67], v72 offset0:13 offset1:26
	ds_read2_b64 v[68:71], v72 offset0:39 offset1:52
	;; [unrolled: 1-line block ×7, first 2 shown]
	ds_read_b64 v[48:49], v48
	ds_read_b64 v[72:73], v72 offset:1560
	s_waitcnt lgkmcnt(0)
	v_mov_b32_e32 v83, v67
	v_mov_b32_e32 v82, v66
	;; [unrolled: 1-line block ×18, first 2 shown]
.LBB0_15:
	s_or_b64 exec, exec, s[48:49]
	v_add_f64 v[78:79], v[54:55], v[50:51]
	v_add_f64 v[52:53], v[52:53], -v[56:57]
	v_add_f64 v[54:55], v[54:55], v[58:59]
	v_add_f64 v[40:41], v[40:41], -v[44:45]
	v_add_f64 v[32:33], v[32:33], -v[36:37]
	;; [unrolled: 1-line block ×5, first 2 shown]
	v_add_f64 v[78:79], v[42:43], v[78:79]
	v_mul_f64 v[56:57], v[52:53], s[46:47]
	v_mul_f64 v[92:93], v[52:53], s[28:29]
	;; [unrolled: 1-line block ×6, first 2 shown]
	v_add_f64 v[42:43], v[42:43], v[46:47]
	v_add_f64 v[78:79], v[34:35], v[78:79]
	v_mul_f64 v[44:45], v[40:41], s[28:29]
	v_fma_f64 v[94:95], v[54:55], s[4:5], v[92:93]
	v_fma_f64 v[92:93], v[54:55], s[4:5], -v[92:93]
	v_fma_f64 v[98:99], v[54:55], s[2:3], v[96:97]
	v_fma_f64 v[96:97], v[54:55], s[2:3], -v[96:97]
	;; [unrolled: 2-line block ×3, first 2 shown]
	v_add_f64 v[78:79], v[22:23], v[78:79]
	v_fma_f64 v[106:107], v[54:55], s[26:27], v[104:105]
	v_fma_f64 v[104:105], v[54:55], s[26:27], -v[104:105]
	v_fma_f64 v[108:109], v[54:55], s[34:35], v[52:53]
	v_fma_f64 v[52:53], v[54:55], s[34:35], -v[52:53]
	v_add_f64 v[94:95], v[94:95], v[50:51]
	v_add_f64 v[92:93], v[92:93], v[50:51]
	;; [unrolled: 1-line block ×12, first 2 shown]
	v_mul_f64 v[36:37], v[32:33], s[38:39]
	v_add_f64 v[22:23], v[22:23], v[26:27]
	v_mul_f64 v[24:25], v[20:21], s[22:23]
	v_add_f64 v[10:11], v[10:11], v[14:15]
	;; [unrolled: 2-line block ×3, first 2 shown]
	s_waitcnt lgkmcnt(0)
	v_add_f64 v[78:79], v[2:3], v[78:79]
	v_mul_f64 v[2:3], v[4:5], s[36:37]
	; wave barrier
	v_add_f64 v[78:79], v[14:15], v[78:79]
	v_fma_f64 v[14:15], v[10:11], s[26:27], v[12:13]
	v_fma_f64 v[12:13], v[10:11], s[26:27], -v[12:13]
	v_fma_f64 v[0:1], v[6:7], s[34:35], v[2:3]
	v_fma_f64 v[2:3], v[6:7], s[34:35], -v[2:3]
	v_add_f64 v[78:79], v[26:27], v[78:79]
	v_fma_f64 v[26:27], v[22:23], s[18:19], v[24:25]
	v_fma_f64 v[24:25], v[22:23], s[18:19], -v[24:25]
	v_add_f64 v[78:79], v[38:39], v[78:79]
	;; [unrolled: 3-line block ×5, first 2 shown]
	v_add_f64 v[56:57], v[56:57], v[50:51]
	v_add_f64 v[50:51], v[52:53], v[50:51]
	v_mul_f64 v[52:53], v[40:41], s[22:23]
	v_add_f64 v[46:47], v[46:47], v[58:59]
	v_add_f64 v[44:45], v[44:45], v[56:57]
	v_mul_f64 v[56:57], v[40:41], s[36:37]
	v_fma_f64 v[54:55], v[42:43], s[18:19], v[52:53]
	v_fma_f64 v[52:53], v[42:43], s[18:19], -v[52:53]
	v_add_f64 v[38:39], v[38:39], v[46:47]
	v_add_f64 v[36:37], v[36:37], v[44:45]
	v_fma_f64 v[58:59], v[42:43], s[34:35], v[56:57]
	v_fma_f64 v[56:57], v[42:43], s[34:35], -v[56:57]
	v_add_f64 v[52:53], v[52:53], v[92:93]
	v_mul_f64 v[92:93], v[40:41], s[42:43]
	v_add_f64 v[54:55], v[54:55], v[94:95]
	v_mul_f64 v[46:47], v[32:33], s[44:45]
	v_add_f64 v[26:27], v[26:27], v[38:39]
	v_add_f64 v[24:25], v[24:25], v[36:37]
	;; [unrolled: 1-line block ×4, first 2 shown]
	v_mul_f64 v[96:97], v[40:41], s[14:15]
	v_fma_f64 v[94:95], v[42:43], s[26:27], v[92:93]
	v_fma_f64 v[92:93], v[42:43], s[26:27], -v[92:93]
	v_mul_f64 v[40:41], v[40:41], s[8:9]
	v_mul_f64 v[38:39], v[20:21], s[8:9]
	v_add_f64 v[12:13], v[12:13], v[24:25]
	v_add_f64 v[14:15], v[14:15], v[26:27]
	v_mul_f64 v[26:27], v[8:9], s[28:29]
	v_fma_f64 v[98:99], v[42:43], s[2:3], v[96:97]
	v_fma_f64 v[96:97], v[42:43], s[2:3], -v[96:97]
	v_add_f64 v[92:93], v[92:93], v[100:101]
	v_fma_f64 v[100:101], v[42:43], s[6:7], v[40:41]
	v_fma_f64 v[40:41], v[42:43], s[6:7], -v[40:41]
	v_mul_f64 v[42:43], v[32:33], s[36:37]
	v_add_f64 v[94:95], v[94:95], v[102:103]
	v_add_f64 v[2:3], v[2:3], v[12:13]
	;; [unrolled: 1-line block ×4, first 2 shown]
	v_mul_f64 v[12:13], v[4:5], s[22:23]
	v_add_f64 v[100:101], v[100:101], v[108:109]
	v_add_f64 v[40:41], v[40:41], v[50:51]
	v_fma_f64 v[44:45], v[34:35], s[34:35], v[42:43]
	v_fma_f64 v[42:43], v[34:35], s[34:35], -v[42:43]
	v_fma_f64 v[50:51], v[34:35], s[18:19], v[46:47]
	v_fma_f64 v[46:47], v[34:35], s[18:19], -v[46:47]
	v_add_f64 v[0:1], v[0:1], v[14:15]
	v_fma_f64 v[14:15], v[6:7], s[18:19], v[12:13]
	v_fma_f64 v[12:13], v[6:7], s[18:19], -v[12:13]
	v_add_f64 v[44:45], v[44:45], v[54:55]
	v_add_f64 v[42:43], v[42:43], v[52:53]
	v_mul_f64 v[52:53], v[32:33], s[8:9]
	v_add_f64 v[46:47], v[46:47], v[56:57]
	v_mul_f64 v[56:57], v[32:33], s[28:29]
	v_mul_f64 v[32:33], v[32:33], s[30:31]
	v_add_f64 v[50:51], v[50:51], v[58:59]
	v_fma_f64 v[54:55], v[34:35], s[6:7], v[52:53]
	v_fma_f64 v[52:53], v[34:35], s[6:7], -v[52:53]
	v_fma_f64 v[58:59], v[34:35], s[4:5], v[56:57]
	v_fma_f64 v[56:57], v[34:35], s[4:5], -v[56:57]
	v_add_f64 v[54:55], v[54:55], v[94:95]
	v_add_f64 v[52:53], v[52:53], v[92:93]
	v_fma_f64 v[92:93], v[34:35], s[26:27], v[32:33]
	v_fma_f64 v[32:33], v[34:35], s[26:27], -v[32:33]
	v_mul_f64 v[34:35], v[20:21], s[42:43]
	v_add_f64 v[56:57], v[56:57], v[96:97]
	v_add_f64 v[58:59], v[58:59], v[98:99]
	;; [unrolled: 1-line block ×4, first 2 shown]
	v_fma_f64 v[36:37], v[22:23], s[26:27], v[34:35]
	v_fma_f64 v[34:35], v[22:23], s[26:27], -v[34:35]
	v_fma_f64 v[40:41], v[22:23], s[6:7], v[38:39]
	v_fma_f64 v[38:39], v[22:23], s[6:7], -v[38:39]
	v_add_f64 v[36:37], v[36:37], v[44:45]
	v_add_f64 v[34:35], v[34:35], v[42:43]
	v_mul_f64 v[42:43], v[20:21], s[38:39]
	v_add_f64 v[38:39], v[38:39], v[46:47]
	v_mul_f64 v[46:47], v[20:21], s[40:41]
	v_mul_f64 v[20:21], v[20:21], s[16:17]
	v_add_f64 v[40:41], v[40:41], v[50:51]
	v_fma_f64 v[44:45], v[22:23], s[2:3], v[42:43]
	v_fma_f64 v[42:43], v[22:23], s[2:3], -v[42:43]
	v_fma_f64 v[50:51], v[22:23], s[34:35], v[46:47]
	v_fma_f64 v[46:47], v[22:23], s[34:35], -v[46:47]
	v_add_f64 v[44:45], v[44:45], v[54:55]
	v_add_f64 v[42:43], v[42:43], v[52:53]
	v_fma_f64 v[52:53], v[22:23], s[4:5], v[20:21]
	v_fma_f64 v[20:21], v[22:23], s[4:5], -v[20:21]
	v_mul_f64 v[22:23], v[8:9], s[14:15]
	v_add_f64 v[46:47], v[46:47], v[56:57]
	v_add_f64 v[50:51], v[50:51], v[58:59]
	;; [unrolled: 1-line block ×4, first 2 shown]
	v_fma_f64 v[24:25], v[10:11], s[2:3], v[22:23]
	v_fma_f64 v[22:23], v[10:11], s[2:3], -v[22:23]
	v_fma_f64 v[32:33], v[10:11], s[4:5], v[26:27]
	v_fma_f64 v[26:27], v[10:11], s[4:5], -v[26:27]
	v_add_f64 v[24:25], v[24:25], v[36:37]
	v_add_f64 v[22:23], v[22:23], v[34:35]
	v_mul_f64 v[34:35], v[8:9], s[40:41]
	v_add_f64 v[26:27], v[26:27], v[38:39]
	v_add_f64 v[32:33], v[32:33], v[40:41]
	v_fma_f64 v[36:37], v[10:11], s[34:35], v[34:35]
	v_fma_f64 v[34:35], v[10:11], s[34:35], -v[34:35]
	v_add_f64 v[36:37], v[36:37], v[44:45]
	v_add_f64 v[38:39], v[34:35], v[42:43]
	v_mul_f64 v[34:35], v[8:9], s[8:9]
	v_mul_f64 v[8:9], v[8:9], s[22:23]
	v_fma_f64 v[40:41], v[10:11], s[6:7], v[34:35]
	v_fma_f64 v[34:35], v[10:11], s[6:7], -v[34:35]
	v_add_f64 v[40:41], v[40:41], v[50:51]
	v_add_f64 v[42:43], v[34:35], v[46:47]
	v_fma_f64 v[34:35], v[10:11], s[18:19], v[8:9]
	v_fma_f64 v[8:9], v[10:11], s[18:19], -v[8:9]
	v_add_f64 v[14:15], v[14:15], v[40:41]
	v_add_f64 v[12:13], v[12:13], v[42:43]
	;; [unrolled: 1-line block ×4, first 2 shown]
	v_mul_f64 v[8:9], v[4:5], s[8:9]
	v_fma_f64 v[10:11], v[6:7], s[6:7], v[8:9]
	v_fma_f64 v[8:9], v[6:7], s[6:7], -v[8:9]
	v_add_f64 v[34:35], v[10:11], v[24:25]
	v_add_f64 v[20:21], v[8:9], v[22:23]
	v_mul_f64 v[8:9], v[4:5], s[30:31]
	v_fma_f64 v[10:11], v[6:7], s[26:27], v[8:9]
	v_fma_f64 v[8:9], v[6:7], s[26:27], -v[8:9]
	v_add_f64 v[22:23], v[10:11], v[32:33]
	v_mul_f64 v[10:11], v[4:5], s[16:17]
	v_mul_f64 v[4:5], v[4:5], s[14:15]
	v_add_f64 v[26:27], v[8:9], v[26:27]
	v_fma_f64 v[8:9], v[6:7], s[4:5], v[10:11]
	v_fma_f64 v[10:11], v[6:7], s[4:5], -v[10:11]
	v_fma_f64 v[24:25], v[6:7], s[2:3], v[4:5]
	v_fma_f64 v[4:5], v[6:7], s[2:3], -v[4:5]
	v_add_f64 v[8:9], v[8:9], v[36:37]
	v_add_f64 v[10:11], v[10:11], v[38:39]
	;; [unrolled: 1-line block ×4, first 2 shown]
	ds_write2_b64 v89, v[78:79], v[0:1] offset1:1
	ds_write2_b64 v89, v[34:35], v[22:23] offset0:2 offset1:3
	ds_write2_b64 v89, v[8:9], v[14:15] offset0:4 offset1:5
	;; [unrolled: 1-line block ×5, first 2 shown]
	ds_write_b64 v89, v[2:3] offset:96
	s_waitcnt lgkmcnt(0)
	; wave barrier
	s_waitcnt lgkmcnt(0)
                                        ; implicit-def: $vgpr4_vgpr5
                                        ; implicit-def: $vgpr24_vgpr25
	s_and_saveexec_b64 s[2:3], s[0:1]
	s_cbranch_execz .LBB0_17
; %bb.16:
	v_add3_u32 v13, 0, v91, v90
	v_add3_u32 v12, 0, v90, v91
	ds_read2_b64 v[38:41], v13 offset0:13 offset1:26
	ds_read2_b64 v[42:45], v13 offset0:39 offset1:52
	;; [unrolled: 1-line block ×7, first 2 shown]
	ds_read_b64 v[78:79], v12
	ds_read_b64 v[24:25], v13 offset:1560
	s_waitcnt lgkmcnt(5)
	v_mov_b32_e32 v13, v11
	s_waitcnt lgkmcnt(3)
	v_mov_b32_e32 v21, v1
	v_mov_b32_e32 v33, v9
	;; [unrolled: 1-line block ×19, first 2 shown]
.LBB0_17:
	s_or_b64 exec, exec, s[2:3]
	v_cmp_gt_u32_e64 s[2:3], 13, v88
	s_and_b64 s[2:3], vcc, s[2:3]
	s_and_saveexec_b64 s[4:5], s[2:3]
	s_cbranch_execz .LBB0_19
; %bb.18:
	v_add_u32_e32 v38, -13, v88
	v_cndmask_b32_e64 v38, v38, v88, s[0:1]
	v_mul_i32_i24_e32 v38, 15, v38
	v_mov_b32_e32 v39, 0
	v_lshlrev_b64 v[38:39], 4, v[38:39]
	v_mov_b32_e32 v40, s13
	v_add_co_u32_e32 v46, vcc, s12, v38
	v_addc_co_u32_e32 v47, vcc, v40, v39, vcc
	global_load_dwordx4 v[38:41], v[46:47], off offset:16
	global_load_dwordx4 v[42:45], v[46:47], off offset:144
	;; [unrolled: 1-line block ×5, first 2 shown]
	global_load_dwordx4 v[93:96], v[46:47], off
	global_load_dwordx4 v[97:100], v[46:47], off offset:48
	global_load_dwordx4 v[101:104], v[46:47], off offset:128
	;; [unrolled: 1-line block ×4, first 2 shown]
	s_mov_b32 s4, 0x667f3bcd
	s_mov_b32 s5, 0x3fe6a09e
	;; [unrolled: 1-line block ×10, first 2 shown]
	v_lshlrev_b64 v[60:61], 4, v[60:61]
	s_waitcnt vmcnt(9)
	v_mul_f64 v[58:59], v[34:35], v[40:41]
	v_mul_f64 v[40:41], v[82:83], v[40:41]
	s_waitcnt vmcnt(8)
	v_mul_f64 v[113:114], v[26:27], v[44:45]
	v_mul_f64 v[44:45], v[84:85], v[44:45]
	s_waitcnt vmcnt(7)
	v_mul_f64 v[117:118], v[36:37], v[52:53]
	v_fma_f64 v[58:59], v[82:83], v[38:39], -v[58:59]
	v_fma_f64 v[115:116], v[34:35], v[38:39], v[40:41]
	global_load_dwordx4 v[38:41], v[46:47], off offset:208
	v_mul_f64 v[82:83], v[36:37], v[50:51]
	global_load_dwordx4 v[34:37], v[46:47], off offset:176
	v_fma_f64 v[113:114], v[84:85], v[42:43], -v[113:114]
	v_fma_f64 v[26:27], v[26:27], v[42:43], v[44:45]
	global_load_dwordx4 v[42:45], v[46:47], off offset:112
	v_fma_f64 v[119:120], v[86:87], v[52:53], v[82:83]
	v_fma_f64 v[86:87], v[86:87], v[50:51], -v[117:118]
	global_load_dwordx4 v[50:53], v[46:47], off offset:192
	global_load_dwordx4 v[82:85], v[46:47], off offset:224
	s_waitcnt vmcnt(11)
	v_mul_f64 v[46:47], v[22:23], v[56:57]
	v_mul_f64 v[56:57], v[80:81], v[56:57]
	v_mul_lo_u32 v117, s25, v62
	v_mul_lo_u32 v118, s24, v63
	v_add_f64 v[26:27], v[115:116], -v[26:27]
	v_fma_f64 v[46:47], v[80:81], v[54:55], -v[46:47]
	v_fma_f64 v[22:23], v[22:23], v[54:55], v[56:57]
	s_waitcnt vmcnt(10)
	v_mul_f64 v[54:55], v[20:21], v[91:92]
	v_mul_f64 v[56:57], v[74:75], v[91:92]
	v_mad_u64_u32 v[80:81], s[0:1], s24, v62, 0
	s_waitcnt vmcnt(8)
	v_mul_f64 v[62:63], v[8:9], v[99:100]
	v_mul_f64 v[91:92], v[0:1], v[95:96]
	s_mov_b32 s1, 0xbfe6a09e
	s_mov_b32 s0, s4
	v_fma_f64 v[54:55], v[74:75], v[89:90], -v[54:55]
	s_waitcnt vmcnt(6)
	v_mul_f64 v[74:75], v[32:33], v[105:106]
	v_mul_f64 v[32:33], v[32:33], v[107:108]
	v_fma_f64 v[20:21], v[20:21], v[89:90], v[56:57]
	v_fma_f64 v[62:63], v[70:71], v[97:98], -v[62:63]
	v_mul_f64 v[70:71], v[70:71], v[99:100]
	v_fma_f64 v[91:92], v[64:65], v[93:94], -v[91:92]
	v_mul_f64 v[64:65], v[64:65], v[95:96]
	v_add3_u32 v81, v81, v118, v117
	v_fma_f64 v[74:75], v[76:77], v[107:108], v[74:75]
	v_fma_f64 v[32:33], v[76:77], v[105:106], -v[32:33]
	v_add_f64 v[20:21], v[22:23], -v[20:21]
	v_fma_f64 v[8:9], v[8:9], v[97:98], v[70:71]
	v_fma_f64 v[0:1], v[0:1], v[93:94], v[64:65]
	v_fma_f64 v[22:23], v[22:23], 2.0, -v[20:21]
	s_waitcnt vmcnt(4) lgkmcnt(2)
	v_mul_f64 v[56:57], v[6:7], v[38:39]
	v_mul_f64 v[6:7], v[6:7], v[40:41]
	s_waitcnt vmcnt(3)
	v_mul_f64 v[76:77], v[2:3], v[36:37]
	s_waitcnt vmcnt(2)
	v_mul_f64 v[89:90], v[12:13], v[42:43]
	v_mul_f64 v[12:13], v[12:13], v[44:45]
	v_fma_f64 v[40:41], v[30:31], v[40:41], v[56:57]
	v_fma_f64 v[6:7], v[30:31], v[38:39], -v[6:7]
	v_mul_f64 v[30:31], v[10:11], v[103:104]
	v_fma_f64 v[76:77], v[18:19], v[34:35], -v[76:77]
	v_mul_f64 v[18:19], v[18:19], v[36:37]
	s_waitcnt vmcnt(1)
	v_mul_f64 v[38:39], v[4:5], v[50:51]
	v_mul_f64 v[4:5], v[4:5], v[52:53]
	;; [unrolled: 1-line block ×3, first 2 shown]
	s_waitcnt vmcnt(0) lgkmcnt(0)
	v_mul_f64 v[36:37], v[24:25], v[82:83]
	v_mul_f64 v[24:25], v[24:25], v[84:85]
	v_fma_f64 v[30:31], v[16:17], v[101:102], -v[30:31]
	v_mul_f64 v[16:17], v[16:17], v[103:104]
	v_mul_f64 v[14:15], v[14:15], v[111:112]
	v_fma_f64 v[12:13], v[68:69], v[42:43], -v[12:13]
	v_fma_f64 v[2:3], v[2:3], v[34:35], v[18:19]
	v_fma_f64 v[44:45], v[68:69], v[44:45], v[89:90]
	;; [unrolled: 1-line block ×5, first 2 shown]
	v_fma_f64 v[24:25], v[72:73], v[82:83], -v[24:25]
	v_fma_f64 v[10:11], v[10:11], v[101:102], v[16:17]
	v_fma_f64 v[14:15], v[66:67], v[109:110], -v[14:15]
	v_fma_f64 v[4:5], v[28:29], v[50:51], -v[4:5]
	v_add_f64 v[16:17], v[58:59], -v[113:114]
	v_add_f64 v[18:19], v[119:120], -v[40:41]
	;; [unrolled: 1-line block ×16, first 2 shown]
	v_add_f64 v[42:43], v[26:27], v[6:7]
	v_add_f64 v[44:45], v[28:29], v[34:35]
	v_add_f64 v[50:51], v[20:21], v[24:25]
	v_add_f64 v[52:53], v[10:11], v[4:5]
	v_add_f64 v[64:65], v[30:31], -v[38:39]
	v_add_f64 v[66:67], v[40:41], -v[36:37]
	v_fma_f64 v[84:85], v[91:92], 2.0, -v[30:31]
	v_fma_f64 v[82:83], v[54:55], s[4:5], v[68:69]
	v_fma_f64 v[4:5], v[14:15], 2.0, -v[4:5]
	v_fma_f64 v[14:15], v[74:75], 2.0, -v[36:37]
	;; [unrolled: 1-line block ×10, first 2 shown]
	v_fma_f64 v[70:71], v[42:43], s[4:5], v[44:45]
	v_fma_f64 v[76:77], v[66:67], s[4:5], v[64:65]
	v_fma_f64 v[58:59], v[58:59], 2.0, -v[16:17]
	v_fma_f64 v[6:7], v[86:87], 2.0, -v[6:7]
	;; [unrolled: 1-line block ×3, first 2 shown]
	v_fma_f64 v[82:83], v[42:43], s[0:1], v[82:83]
	v_add_f64 v[62:63], v[84:85], -v[4:5]
	v_add_f64 v[74:75], v[22:23], -v[14:15]
	;; [unrolled: 1-line block ×4, first 2 shown]
	v_fma_f64 v[34:35], v[34:35], 2.0, -v[44:45]
	v_fma_f64 v[14:15], v[26:27], 2.0, -v[42:43]
	;; [unrolled: 1-line block ×5, first 2 shown]
	v_fma_f64 v[72:73], v[50:51], s[4:5], v[52:53]
	v_fma_f64 v[70:71], v[54:55], s[4:5], v[70:71]
	;; [unrolled: 1-line block ×3, first 2 shown]
	v_add_f64 v[48:49], v[58:59], -v[6:7]
	v_add_f64 v[86:87], v[36:37], -v[0:1]
	;; [unrolled: 1-line block ×5, first 2 shown]
	v_fma_f64 v[0:1], v[16:17], 2.0, -v[54:55]
	v_fma_f64 v[4:5], v[14:15], s[0:1], v[34:35]
	v_fma_f64 v[54:55], v[30:31], 2.0, -v[64:65]
	v_fma_f64 v[6:7], v[40:41], 2.0, -v[66:67]
	v_fma_f64 v[10:11], v[18:19], s[0:1], v[42:43]
	v_add_f64 v[56:57], v[78:79], -v[2:3]
	v_fma_f64 v[72:73], v[66:67], s[4:5], v[72:73]
	v_add_f64 v[20:21], v[86:87], v[24:25]
	v_fma_f64 v[16:17], v[50:51], s[4:5], v[91:92]
	v_fma_f64 v[66:67], v[0:1], s[4:5], v[4:5]
	v_fma_f64 v[40:41], v[12:13], 2.0, -v[68:69]
	v_fma_f64 v[30:31], v[6:7], s[0:1], v[54:55]
	v_fma_f64 v[93:94], v[6:7], s[4:5], v[10:11]
	v_add_f64 v[26:27], v[48:49], v[56:57]
	v_fma_f64 v[8:9], v[72:73], s[6:7], v[70:71]
	v_fma_f64 v[78:79], v[78:79], 2.0, -v[56:57]
	v_fma_f64 v[4:5], v[20:21], s[0:1], v[16:17]
	v_fma_f64 v[24:25], v[38:39], 2.0, -v[24:25]
	v_fma_f64 v[10:11], v[0:1], s[0:1], v[40:41]
	v_fma_f64 v[95:96], v[18:19], s[0:1], v[30:31]
	v_fma_f64 v[16:17], v[93:94], s[2:3], v[66:67]
	v_fma_f64 v[30:31], v[46:47], 2.0, -v[89:90]
	v_fma_f64 v[46:47], v[84:85], 2.0, -v[62:63]
	;; [unrolled: 1-line block ×4, first 2 shown]
	v_fma_f64 v[12:13], v[20:21], s[4:5], v[26:27]
	v_fma_f64 v[2:3], v[76:77], s[2:3], v[8:9]
	v_fma_f64 v[8:9], v[76:77], s[6:7], v[82:83]
	v_fma_f64 v[18:19], v[95:96], s[6:7], v[16:17]
	v_fma_f64 v[36:37], v[36:37], 2.0, -v[86:87]
	v_fma_f64 v[22:23], v[22:23], 2.0, -v[74:75]
	;; [unrolled: 1-line block ×3, first 2 shown]
	v_add_f64 v[58:59], v[84:85], -v[32:33]
	v_fma_f64 v[32:33], v[64:65], 2.0, -v[76:77]
	v_fma_f64 v[64:65], v[68:69], 2.0, -v[82:83]
	v_fma_f64 v[6:7], v[50:51], s[4:5], v[12:13]
	v_fma_f64 v[44:45], v[52:53], 2.0, -v[72:73]
	v_add_f64 v[48:49], v[78:79], -v[30:31]
	v_add_f64 v[52:53], v[46:47], -v[24:25]
	v_fma_f64 v[56:57], v[56:57], 2.0, -v[26:27]
	v_fma_f64 v[68:69], v[86:87], 2.0, -v[20:21]
	v_fma_f64 v[0:1], v[72:73], s[8:9], v[8:9]
	v_fma_f64 v[97:98], v[14:15], s[0:1], v[10:11]
	v_fma_f64 v[10:11], v[70:71], 2.0, -v[2:3]
	v_add_f64 v[70:71], v[36:37], -v[22:23]
	v_fma_f64 v[22:23], v[66:67], 2.0, -v[18:19]
	v_fma_f64 v[72:73], v[32:33], s[8:9], v[64:65]
	v_fma_f64 v[66:67], v[34:35], 2.0, -v[66:67]
	v_fma_f64 v[76:77], v[42:43], 2.0, -v[93:94]
	;; [unrolled: 1-line block ×5, first 2 shown]
	v_add_f64 v[26:27], v[48:49], v[52:53]
	v_fma_f64 v[62:63], v[68:69], s[0:1], v[56:57]
	v_fma_f64 v[30:31], v[44:45], s[8:9], v[38:39]
	v_fma_f64 v[54:55], v[54:55], 2.0, -v[95:96]
	v_fma_f64 v[28:29], v[44:45], s[12:13], v[72:73]
	v_fma_f64 v[44:45], v[76:77], s[12:13], v[66:67]
	v_fma_f64 v[8:9], v[82:83], 2.0, -v[0:1]
	v_fma_f64 v[82:83], v[40:41], 2.0, -v[97:98]
	v_fma_f64 v[40:41], v[50:51], s[0:1], v[74:75]
	v_add_f64 v[24:25], v[58:59], -v[70:71]
	v_fma_f64 v[34:35], v[48:49], 2.0, -v[26:27]
	v_fma_f64 v[72:73], v[78:79], 2.0, -v[48:49]
	;; [unrolled: 1-line block ×5, first 2 shown]
	v_fma_f64 v[42:43], v[50:51], s[4:5], v[62:63]
	v_fma_f64 v[46:47], v[54:55], s[2:3], v[44:45]
	;; [unrolled: 1-line block ×3, first 2 shown]
	v_mad_u64_u32 v[68:69], s[0:1], s20, v88, 0
	v_fma_f64 v[62:63], v[54:55], s[12:13], v[82:83]
	v_add_f64 v[54:55], v[72:73], -v[48:49]
	v_add_f64 v[52:53], v[70:71], -v[52:53]
	v_fma_f64 v[50:51], v[56:57], 2.0, -v[42:43]
	v_mov_b32_e32 v56, v69
	v_fma_f64 v[30:31], v[32:33], s[6:7], v[30:31]
	v_fma_f64 v[32:33], v[58:59], 2.0, -v[24:25]
	v_fma_f64 v[58:59], v[66:67], 2.0, -v[46:47]
	v_mad_u64_u32 v[66:67], s[0:1], s21, v88, v[56:57]
	v_fma_f64 v[36:37], v[64:65], 2.0, -v[28:29]
	v_fma_f64 v[44:45], v[76:77], s[8:9], v[62:63]
	v_mov_b32_e32 v69, v66
	v_lshlrev_b64 v[66:67], 4, v[80:81]
	v_fma_f64 v[64:65], v[72:73], 2.0, -v[54:55]
	v_fma_f64 v[62:63], v[70:71], 2.0, -v[52:53]
	v_mov_b32_e32 v70, s11
	v_add_co_u32_e32 v71, vcc, s10, v66
	v_addc_co_u32_e32 v70, vcc, v70, v67, vcc
	v_add_co_u32_e32 v71, vcc, v71, v60
	v_add_u32_e32 v72, 13, v88
	v_addc_co_u32_e32 v70, vcc, v70, v61, vcc
	v_lshlrev_b64 v[60:61], 4, v[68:69]
	v_mad_u64_u32 v[66:67], s[0:1], s20, v72, 0
	v_add_co_u32_e32 v60, vcc, v71, v60
	v_addc_co_u32_e32 v61, vcc, v70, v61, vcc
	global_store_dwordx4 v[60:61], v[62:65], off
	v_fma_f64 v[56:57], v[82:83], 2.0, -v[44:45]
	v_add_u32_e32 v64, 26, v88
	v_mad_u64_u32 v[67:68], s[0:1], s21, v72, v[67:68]
	v_mad_u64_u32 v[62:63], s[0:1], s20, v64, 0
	v_fma_f64 v[48:49], v[74:75], 2.0, -v[40:41]
	v_lshlrev_b64 v[60:61], 4, v[66:67]
	v_mad_u64_u32 v[63:64], s[0:1], s21, v64, v[63:64]
	v_add_co_u32_e32 v60, vcc, v71, v60
	v_addc_co_u32_e32 v61, vcc, v70, v61, vcc
	v_add_u32_e32 v66, 39, v88
	v_mad_u64_u32 v[64:65], s[0:1], s20, v66, 0
	global_store_dwordx4 v[60:61], v[56:59], off
	v_fma_f64 v[16:17], v[95:96], s[2:3], v[97:98]
	v_lshlrev_b64 v[56:57], 4, v[62:63]
	v_mov_b32_e32 v58, v65
	v_add_co_u32_e32 v56, vcc, v71, v56
	v_addc_co_u32_e32 v57, vcc, v70, v57, vcc
	global_store_dwordx4 v[56:57], v[48:51], off
	v_add_u32_e32 v56, 52, v88
	v_mad_u64_u32 v[58:59], s[0:1], s21, v66, v[58:59]
	v_mad_u64_u32 v[50:51], s[0:1], s20, v56, 0
	v_fma_f64 v[38:39], v[38:39], 2.0, -v[30:31]
	v_mov_b32_e32 v65, v58
	v_mad_u64_u32 v[56:57], s[0:1], s21, v56, v[51:52]
	v_lshlrev_b64 v[48:49], 4, v[64:65]
	v_fma_f64 v[16:17], v[93:94], s[12:13], v[16:17]
	v_add_co_u32_e32 v48, vcc, v71, v48
	v_add_u32_e32 v59, 0x41, v88
	v_addc_co_u32_e32 v49, vcc, v70, v49, vcc
	v_mad_u64_u32 v[57:58], s[0:1], s20, v59, 0
	v_mov_b32_e32 v51, v56
	global_store_dwordx4 v[48:49], v[36:39], off
	v_fma_f64 v[20:21], v[97:98], 2.0, -v[16:17]
	v_lshlrev_b64 v[36:37], 4, v[50:51]
	v_mov_b32_e32 v38, v58
	v_add_co_u32_e32 v36, vcc, v71, v36
	v_addc_co_u32_e32 v37, vcc, v70, v37, vcc
	v_mad_u64_u32 v[38:39], s[0:1], s21, v59, v[38:39]
	global_store_dwordx4 v[36:37], v[32:35], off
	v_add_u32_e32 v36, 0x4e, v88
	v_mad_u64_u32 v[34:35], s[0:1], s20, v36, 0
	v_mov_b32_e32 v58, v38
	v_fma_f64 v[12:13], v[91:92], 2.0, -v[4:5]
	v_lshlrev_b64 v[32:33], 4, v[57:58]
	v_mad_u64_u32 v[35:36], s[0:1], s21, v36, v[35:36]
	v_add_co_u32_e32 v32, vcc, v71, v32
	v_addc_co_u32_e32 v33, vcc, v70, v33, vcc
	v_add_u32_e32 v38, 0x5b, v88
	v_mad_u64_u32 v[36:37], s[0:1], s20, v38, 0
	global_store_dwordx4 v[32:33], v[20:23], off
	s_nop 0
	v_lshlrev_b64 v[20:21], 4, v[34:35]
	v_mov_b32_e32 v22, v37
	v_add_co_u32_e32 v20, vcc, v71, v20
	v_addc_co_u32_e32 v21, vcc, v70, v21, vcc
	global_store_dwordx4 v[20:21], v[12:15], off
	v_add_u32_e32 v20, 0x68, v88
	v_mad_u64_u32 v[22:23], s[0:1], s21, v38, v[22:23]
	v_mad_u64_u32 v[14:15], s[0:1], s20, v20, 0
	v_mov_b32_e32 v37, v22
	v_add_u32_e32 v23, 0x75, v88
	v_mad_u64_u32 v[20:21], s[0:1], s21, v20, v[15:16]
	v_lshlrev_b64 v[12:13], 4, v[36:37]
	v_mad_u64_u32 v[21:22], s[0:1], s20, v23, 0
	v_add_co_u32_e32 v12, vcc, v71, v12
	v_addc_co_u32_e32 v13, vcc, v70, v13, vcc
	global_store_dwordx4 v[12:13], v[8:11], off
	v_add_u32_e32 v12, 0x82, v88
	v_mov_b32_e32 v10, v22
	v_mad_u64_u32 v[10:11], s[0:1], s21, v23, v[10:11]
	v_mov_b32_e32 v15, v20
	v_lshlrev_b64 v[8:9], 4, v[14:15]
	v_mov_b32_e32 v22, v10
	v_mad_u64_u32 v[10:11], s[0:1], s20, v12, 0
	v_add_co_u32_e32 v8, vcc, v71, v8
	v_addc_co_u32_e32 v9, vcc, v70, v9, vcc
	v_mad_u64_u32 v[11:12], s[0:1], s21, v12, v[11:12]
	v_add_u32_e32 v14, 0x8f, v88
	global_store_dwordx4 v[8:9], v[52:55], off
	v_lshlrev_b64 v[8:9], 4, v[21:22]
	v_mad_u64_u32 v[12:13], s[0:1], s20, v14, 0
	v_add_co_u32_e32 v8, vcc, v71, v8
	v_addc_co_u32_e32 v9, vcc, v70, v9, vcc
	global_store_dwordx4 v[8:9], v[44:47], off
	v_lshlrev_b64 v[8:9], 4, v[10:11]
	v_mov_b32_e32 v10, v13
	v_mad_u64_u32 v[10:11], s[0:1], s21, v14, v[10:11]
	v_add_co_u32_e32 v8, vcc, v71, v8
	v_addc_co_u32_e32 v9, vcc, v70, v9, vcc
	v_mov_b32_e32 v13, v10
	global_store_dwordx4 v[8:9], v[40:43], off
	v_lshlrev_b64 v[8:9], 4, v[12:13]
	v_add_u32_e32 v12, 0x9c, v88
	v_mad_u64_u32 v[10:11], s[0:1], s20, v12, 0
	v_add_u32_e32 v14, 0xa9, v88
	v_add_co_u32_e32 v8, vcc, v71, v8
	v_mad_u64_u32 v[11:12], s[0:1], s21, v12, v[11:12]
	v_mad_u64_u32 v[12:13], s[0:1], s20, v14, 0
	v_addc_co_u32_e32 v9, vcc, v70, v9, vcc
	global_store_dwordx4 v[8:9], v[28:31], off
	v_lshlrev_b64 v[8:9], 4, v[10:11]
	v_mov_b32_e32 v10, v13
	v_mad_u64_u32 v[10:11], s[0:1], s21, v14, v[10:11]
	v_add_co_u32_e32 v8, vcc, v71, v8
	v_addc_co_u32_e32 v9, vcc, v70, v9, vcc
	v_mov_b32_e32 v13, v10
	global_store_dwordx4 v[8:9], v[24:27], off
	v_lshlrev_b64 v[8:9], 4, v[12:13]
	v_add_u32_e32 v12, 0xb6, v88
	v_mad_u64_u32 v[10:11], s[0:1], s20, v12, 0
	v_add_u32_e32 v14, 0xc3, v88
	v_add_co_u32_e32 v8, vcc, v71, v8
	v_mad_u64_u32 v[11:12], s[0:1], s21, v12, v[11:12]
	v_mad_u64_u32 v[12:13], s[0:1], s20, v14, 0
	v_addc_co_u32_e32 v9, vcc, v70, v9, vcc
	global_store_dwordx4 v[8:9], v[16:19], off
	v_lshlrev_b64 v[8:9], 4, v[10:11]
	v_mov_b32_e32 v10, v13
	v_mad_u64_u32 v[10:11], s[0:1], s21, v14, v[10:11]
	v_add_co_u32_e32 v8, vcc, v71, v8
	v_addc_co_u32_e32 v9, vcc, v70, v9, vcc
	v_mov_b32_e32 v13, v10
	global_store_dwordx4 v[8:9], v[4:7], off
	s_nop 0
	v_lshlrev_b64 v[4:5], 4, v[12:13]
	v_add_co_u32_e32 v4, vcc, v71, v4
	v_addc_co_u32_e32 v5, vcc, v70, v5, vcc
	global_store_dwordx4 v[4:5], v[0:3], off
.LBB0_19:
	s_endpgm
	.section	.rodata,"a",@progbits
	.p2align	6, 0x0
	.amdhsa_kernel fft_rtc_fwd_len208_factors_13_16_wgs_64_tpt_16_halfLds_dp_op_CI_CI_sbrr_dirReg
		.amdhsa_group_segment_fixed_size 0
		.amdhsa_private_segment_fixed_size 0
		.amdhsa_kernarg_size 104
		.amdhsa_user_sgpr_count 6
		.amdhsa_user_sgpr_private_segment_buffer 1
		.amdhsa_user_sgpr_dispatch_ptr 0
		.amdhsa_user_sgpr_queue_ptr 0
		.amdhsa_user_sgpr_kernarg_segment_ptr 1
		.amdhsa_user_sgpr_dispatch_id 0
		.amdhsa_user_sgpr_flat_scratch_init 0
		.amdhsa_user_sgpr_private_segment_size 0
		.amdhsa_uses_dynamic_stack 0
		.amdhsa_system_sgpr_private_segment_wavefront_offset 0
		.amdhsa_system_sgpr_workgroup_id_x 1
		.amdhsa_system_sgpr_workgroup_id_y 0
		.amdhsa_system_sgpr_workgroup_id_z 0
		.amdhsa_system_sgpr_workgroup_info 0
		.amdhsa_system_vgpr_workitem_id 0
		.amdhsa_next_free_vgpr 121
		.amdhsa_next_free_sgpr 50
		.amdhsa_reserve_vcc 1
		.amdhsa_reserve_flat_scratch 0
		.amdhsa_float_round_mode_32 0
		.amdhsa_float_round_mode_16_64 0
		.amdhsa_float_denorm_mode_32 3
		.amdhsa_float_denorm_mode_16_64 3
		.amdhsa_dx10_clamp 1
		.amdhsa_ieee_mode 1
		.amdhsa_fp16_overflow 0
		.amdhsa_exception_fp_ieee_invalid_op 0
		.amdhsa_exception_fp_denorm_src 0
		.amdhsa_exception_fp_ieee_div_zero 0
		.amdhsa_exception_fp_ieee_overflow 0
		.amdhsa_exception_fp_ieee_underflow 0
		.amdhsa_exception_fp_ieee_inexact 0
		.amdhsa_exception_int_div_zero 0
	.end_amdhsa_kernel
	.text
.Lfunc_end0:
	.size	fft_rtc_fwd_len208_factors_13_16_wgs_64_tpt_16_halfLds_dp_op_CI_CI_sbrr_dirReg, .Lfunc_end0-fft_rtc_fwd_len208_factors_13_16_wgs_64_tpt_16_halfLds_dp_op_CI_CI_sbrr_dirReg
                                        ; -- End function
	.section	.AMDGPU.csdata,"",@progbits
; Kernel info:
; codeLenInByte = 9012
; NumSgprs: 54
; NumVgprs: 121
; ScratchSize: 0
; MemoryBound: 1
; FloatMode: 240
; IeeeMode: 1
; LDSByteSize: 0 bytes/workgroup (compile time only)
; SGPRBlocks: 6
; VGPRBlocks: 30
; NumSGPRsForWavesPerEU: 54
; NumVGPRsForWavesPerEU: 121
; Occupancy: 2
; WaveLimiterHint : 1
; COMPUTE_PGM_RSRC2:SCRATCH_EN: 0
; COMPUTE_PGM_RSRC2:USER_SGPR: 6
; COMPUTE_PGM_RSRC2:TRAP_HANDLER: 0
; COMPUTE_PGM_RSRC2:TGID_X_EN: 1
; COMPUTE_PGM_RSRC2:TGID_Y_EN: 0
; COMPUTE_PGM_RSRC2:TGID_Z_EN: 0
; COMPUTE_PGM_RSRC2:TIDIG_COMP_CNT: 0
	.type	__hip_cuid_29574a9467b5700c,@object ; @__hip_cuid_29574a9467b5700c
	.section	.bss,"aw",@nobits
	.globl	__hip_cuid_29574a9467b5700c
__hip_cuid_29574a9467b5700c:
	.byte	0                               ; 0x0
	.size	__hip_cuid_29574a9467b5700c, 1

	.ident	"AMD clang version 19.0.0git (https://github.com/RadeonOpenCompute/llvm-project roc-6.4.0 25133 c7fe45cf4b819c5991fe208aaa96edf142730f1d)"
	.section	".note.GNU-stack","",@progbits
	.addrsig
	.addrsig_sym __hip_cuid_29574a9467b5700c
	.amdgpu_metadata
---
amdhsa.kernels:
  - .args:
      - .actual_access:  read_only
        .address_space:  global
        .offset:         0
        .size:           8
        .value_kind:     global_buffer
      - .offset:         8
        .size:           8
        .value_kind:     by_value
      - .actual_access:  read_only
        .address_space:  global
        .offset:         16
        .size:           8
        .value_kind:     global_buffer
      - .actual_access:  read_only
        .address_space:  global
        .offset:         24
        .size:           8
        .value_kind:     global_buffer
      - .actual_access:  read_only
        .address_space:  global
        .offset:         32
        .size:           8
        .value_kind:     global_buffer
      - .offset:         40
        .size:           8
        .value_kind:     by_value
      - .actual_access:  read_only
        .address_space:  global
        .offset:         48
        .size:           8
        .value_kind:     global_buffer
      - .actual_access:  read_only
        .address_space:  global
        .offset:         56
        .size:           8
        .value_kind:     global_buffer
      - .offset:         64
        .size:           4
        .value_kind:     by_value
      - .actual_access:  read_only
        .address_space:  global
        .offset:         72
        .size:           8
        .value_kind:     global_buffer
      - .actual_access:  read_only
        .address_space:  global
        .offset:         80
        .size:           8
        .value_kind:     global_buffer
      - .actual_access:  read_only
        .address_space:  global
        .offset:         88
        .size:           8
        .value_kind:     global_buffer
      - .actual_access:  write_only
        .address_space:  global
        .offset:         96
        .size:           8
        .value_kind:     global_buffer
    .group_segment_fixed_size: 0
    .kernarg_segment_align: 8
    .kernarg_segment_size: 104
    .language:       OpenCL C
    .language_version:
      - 2
      - 0
    .max_flat_workgroup_size: 64
    .name:           fft_rtc_fwd_len208_factors_13_16_wgs_64_tpt_16_halfLds_dp_op_CI_CI_sbrr_dirReg
    .private_segment_fixed_size: 0
    .sgpr_count:     54
    .sgpr_spill_count: 0
    .symbol:         fft_rtc_fwd_len208_factors_13_16_wgs_64_tpt_16_halfLds_dp_op_CI_CI_sbrr_dirReg.kd
    .uniform_work_group_size: 1
    .uses_dynamic_stack: false
    .vgpr_count:     121
    .vgpr_spill_count: 0
    .wavefront_size: 64
amdhsa.target:   amdgcn-amd-amdhsa--gfx906
amdhsa.version:
  - 1
  - 2
...

	.end_amdgpu_metadata
